;; amdgpu-corpus repo=ROCm/rocFFT kind=compiled arch=gfx950 opt=O3
	.text
	.amdgcn_target "amdgcn-amd-amdhsa--gfx950"
	.amdhsa_code_object_version 6
	.protected	fft_rtc_back_len121_factors_11_11_wgs_121_tpt_11_sp_ip_CI_sbcc_twdbase8_2step_dirReg ; -- Begin function fft_rtc_back_len121_factors_11_11_wgs_121_tpt_11_sp_ip_CI_sbcc_twdbase8_2step_dirReg
	.globl	fft_rtc_back_len121_factors_11_11_wgs_121_tpt_11_sp_ip_CI_sbcc_twdbase8_2step_dirReg
	.p2align	8
	.type	fft_rtc_back_len121_factors_11_11_wgs_121_tpt_11_sp_ip_CI_sbcc_twdbase8_2step_dirReg,@function
fft_rtc_back_len121_factors_11_11_wgs_121_tpt_11_sp_ip_CI_sbcc_twdbase8_2step_dirReg: ; @fft_rtc_back_len121_factors_11_11_wgs_121_tpt_11_sp_ip_CI_sbcc_twdbase8_2step_dirReg
; %bb.0:
	s_load_dwordx4 s[12:15], s[0:1], 0x18
	s_mov_b32 s3, 0
	s_mov_b64 s[24:25], 0
	s_waitcnt lgkmcnt(0)
	s_load_dwordx2 s[18:19], s[12:13], 0x8
	s_waitcnt lgkmcnt(0)
	s_add_u32 s4, s18, -1
	s_addc_u32 s5, s19, -1
	s_add_u32 s6, 0, 0x5d161400
	s_addc_u32 s7, 0, 0x54
	s_mul_hi_u32 s9, s6, -11
	s_add_i32 s7, s7, 0x1745d120
	s_sub_i32 s9, s9, s6
	s_mul_i32 s16, s7, -11
	s_mul_i32 s8, s6, -11
	s_add_i32 s9, s9, s16
	s_mul_hi_u32 s10, s7, s8
	s_mul_i32 s11, s7, s8
	s_mul_i32 s17, s6, s9
	s_mul_hi_u32 s8, s6, s8
	s_mul_hi_u32 s16, s6, s9
	s_add_u32 s8, s8, s17
	s_addc_u32 s16, 0, s16
	s_add_u32 s8, s8, s11
	s_mul_hi_u32 s17, s7, s9
	s_addc_u32 s8, s16, s10
	s_addc_u32 s10, s17, 0
	s_mul_i32 s9, s7, s9
	s_add_u32 s8, s8, s9
	v_mov_b32_e32 v1, s8
	s_addc_u32 s9, 0, s10
	v_add_co_u32_e32 v1, vcc, s6, v1
	s_cmp_lg_u64 vcc, 0
	s_addc_u32 s6, s7, s9
	v_readfirstlane_b32 s9, v1
	s_mul_i32 s8, s4, s6
	s_mul_hi_u32 s10, s4, s9
	s_mul_hi_u32 s7, s4, s6
	s_add_u32 s8, s10, s8
	s_addc_u32 s7, 0, s7
	s_mul_hi_u32 s11, s5, s9
	s_mul_i32 s9, s5, s9
	s_add_u32 s8, s8, s9
	s_mul_hi_u32 s10, s5, s6
	s_addc_u32 s7, s7, s11
	s_addc_u32 s8, s10, 0
	s_mul_i32 s6, s5, s6
	s_add_u32 s6, s7, s6
	s_addc_u32 s7, 0, s8
	s_add_u32 s8, s6, 1
	s_addc_u32 s9, s7, 0
	s_add_u32 s10, s6, 2
	s_mul_i32 s16, s7, 11
	s_mul_hi_u32 s17, s6, 11
	s_addc_u32 s11, s7, 0
	s_add_i32 s17, s17, s16
	s_mul_i32 s16, s6, 11
	v_mov_b32_e32 v1, s16
	v_sub_co_u32_e32 v1, vcc, s4, v1
	s_cmp_lg_u64 vcc, 0
	s_subb_u32 s4, s5, s17
	v_subrev_co_u32_e32 v2, vcc, 11, v1
	s_cmp_lg_u64 vcc, 0
	s_subb_u32 s5, s4, 0
	v_readfirstlane_b32 s16, v2
	s_cmp_gt_u32 s16, 10
	s_cselect_b32 s16, -1, 0
	s_cmp_eq_u32 s5, 0
	s_cselect_b32 s5, s16, -1
	s_cmp_lg_u32 s5, 0
	s_cselect_b32 s5, s10, s8
	s_cselect_b32 s8, s11, s9
	v_readfirstlane_b32 s9, v1
	s_cmp_gt_u32 s9, 10
	s_cselect_b32 s9, -1, 0
	s_cmp_eq_u32 s4, 0
	s_cselect_b32 s4, s9, -1
	s_cmp_lg_u32 s4, 0
	s_cselect_b32 s5, s5, s6
	s_cselect_b32 s4, s8, s7
	s_add_u32 s20, s5, 1
	s_addc_u32 s21, s4, 0
	v_mov_b64_e32 v[2:3], s[20:21]
	v_cmp_lt_u64_e32 vcc, s[2:3], v[2:3]
	s_cbranch_vccnz .LBB0_2
; %bb.1:
	v_cvt_f32_u32_e32 v1, s20
	s_sub_i32 s4, 0, s20
	s_mov_b32 s25, s3
	v_rcp_iflag_f32_e32 v1, v1
	s_nop 0
	v_mul_f32_e32 v1, 0x4f7ffffe, v1
	v_cvt_u32_f32_e32 v1, v1
	s_nop 0
	v_readfirstlane_b32 s5, v1
	s_mul_i32 s4, s4, s5
	s_mul_hi_u32 s4, s5, s4
	s_add_i32 s5, s5, s4
	s_mul_hi_u32 s4, s2, s5
	s_mul_i32 s6, s4, s20
	s_sub_i32 s6, s2, s6
	s_add_i32 s5, s4, 1
	s_sub_i32 s7, s6, s20
	s_cmp_ge_u32 s6, s20
	s_cselect_b32 s4, s5, s4
	s_cselect_b32 s6, s7, s6
	s_add_i32 s5, s4, 1
	s_cmp_ge_u32 s6, s20
	s_cselect_b32 s24, s5, s4
.LBB0_2:
	s_load_dwordx2 s[16:17], s[0:1], 0x58
	s_load_dwordx4 s[4:7], s[14:15], 0x0
	s_load_dwordx2 s[42:43], s[0:1], 0x0
	s_load_dwordx4 s[8:11], s[0:1], 0x8
	s_mul_i32 s0, s24, s21
	s_mul_hi_u32 s1, s24, s20
	s_add_i32 s1, s1, s0
	s_mul_i32 s0, s24, s20
	s_sub_u32 s0, s2, s0
	s_subb_u32 s1, 0, s1
	s_mul_i32 s1, s1, 11
	s_mul_hi_u32 s22, s0, 11
	s_add_i32 s23, s22, s1
	s_mul_i32 s22, s0, 11
	s_waitcnt lgkmcnt(0)
	s_mul_i32 s0, s6, s23
	s_mul_hi_u32 s1, s6, s22
	s_add_i32 s0, s1, s0
	s_mul_i32 s1, s7, s22
	s_add_i32 s33, s0, s1
	v_cmp_lt_u64_e64 s[0:1], s[10:11], 3
	s_mul_i32 s38, s6, s22
	s_and_b64 vcc, exec, s[0:1]
	s_cbranch_vccnz .LBB0_12
; %bb.3:
	s_add_u32 s26, s14, 16
	s_addc_u32 s27, s15, 0
	s_add_u32 s12, s12, 16
	s_addc_u32 s13, s13, 0
	s_mov_b64 s[28:29], 2
	s_mov_b32 s30, 0
	v_mov_b64_e32 v[2:3], s[10:11]
.LBB0_4:                                ; =>This Inner Loop Header: Depth=1
	s_load_dwordx2 s[34:35], s[12:13], 0x0
	s_waitcnt lgkmcnt(0)
	s_or_b64 s[0:1], s[24:25], s[34:35]
	s_mov_b32 s31, s1
	s_cmp_lg_u64 s[30:31], 0
	s_cbranch_scc0 .LBB0_9
; %bb.5:                                ;   in Loop: Header=BB0_4 Depth=1
	v_cvt_f32_u32_e32 v1, s34
	v_cvt_f32_u32_e32 v4, s35
	s_sub_u32 s0, 0, s34
	s_subb_u32 s1, 0, s35
	v_fmac_f32_e32 v1, 0x4f800000, v4
	v_rcp_f32_e32 v1, v1
	s_nop 0
	v_mul_f32_e32 v1, 0x5f7ffffc, v1
	v_mul_f32_e32 v4, 0x2f800000, v1
	v_trunc_f32_e32 v4, v4
	v_fmac_f32_e32 v1, 0xcf800000, v4
	v_cvt_u32_f32_e32 v4, v4
	v_cvt_u32_f32_e32 v1, v1
	v_readfirstlane_b32 s31, v4
	v_readfirstlane_b32 s36, v1
	s_mul_i32 s37, s0, s31
	s_mul_hi_u32 s40, s0, s36
	s_mul_i32 s39, s1, s36
	s_add_i32 s37, s40, s37
	s_mul_i32 s41, s0, s36
	s_add_i32 s37, s37, s39
	s_mul_hi_u32 s39, s36, s37
	s_mul_i32 s40, s36, s37
	s_mul_hi_u32 s36, s36, s41
	s_add_u32 s36, s36, s40
	s_addc_u32 s39, 0, s39
	s_mul_hi_u32 s44, s31, s41
	s_mul_i32 s41, s31, s41
	s_add_u32 s36, s36, s41
	s_mul_hi_u32 s40, s31, s37
	s_addc_u32 s36, s39, s44
	s_addc_u32 s39, s40, 0
	s_mul_i32 s37, s31, s37
	s_add_u32 s36, s36, s37
	s_addc_u32 s37, 0, s39
	v_add_co_u32_e32 v1, vcc, s36, v1
	s_cmp_lg_u64 vcc, 0
	s_addc_u32 s31, s31, s37
	v_readfirstlane_b32 s37, v1
	s_mul_i32 s36, s0, s31
	s_mul_hi_u32 s39, s0, s37
	s_add_i32 s36, s39, s36
	s_mul_i32 s1, s1, s37
	s_add_i32 s36, s36, s1
	s_mul_i32 s0, s0, s37
	s_mul_hi_u32 s39, s31, s0
	s_mul_i32 s40, s31, s0
	s_mul_i32 s44, s37, s36
	s_mul_hi_u32 s0, s37, s0
	s_mul_hi_u32 s41, s37, s36
	s_add_u32 s0, s0, s44
	s_addc_u32 s37, 0, s41
	s_add_u32 s0, s0, s40
	s_mul_hi_u32 s1, s31, s36
	s_addc_u32 s0, s37, s39
	s_addc_u32 s1, s1, 0
	s_mul_i32 s36, s31, s36
	s_add_u32 s0, s0, s36
	s_addc_u32 s1, 0, s1
	v_add_co_u32_e32 v1, vcc, s0, v1
	s_cmp_lg_u64 vcc, 0
	s_addc_u32 s0, s31, s1
	v_readfirstlane_b32 s36, v1
	s_mul_i32 s31, s24, s0
	s_mul_hi_u32 s37, s24, s36
	s_mul_hi_u32 s1, s24, s0
	s_add_u32 s31, s37, s31
	s_addc_u32 s1, 0, s1
	s_mul_hi_u32 s39, s25, s36
	s_mul_i32 s36, s25, s36
	s_add_u32 s31, s31, s36
	s_mul_hi_u32 s37, s25, s0
	s_addc_u32 s1, s1, s39
	s_addc_u32 s31, s37, 0
	s_mul_i32 s0, s25, s0
	s_add_u32 s36, s1, s0
	s_addc_u32 s31, 0, s31
	s_mul_i32 s0, s34, s31
	s_mul_hi_u32 s1, s34, s36
	s_add_i32 s0, s1, s0
	s_mul_i32 s1, s35, s36
	s_add_i32 s37, s0, s1
	s_mul_i32 s1, s34, s36
	v_mov_b32_e32 v1, s1
	s_sub_i32 s0, s25, s37
	v_sub_co_u32_e32 v1, vcc, s24, v1
	s_cmp_lg_u64 vcc, 0
	s_subb_u32 s39, s0, s35
	v_subrev_co_u32_e64 v4, s[0:1], s34, v1
	s_cmp_lg_u64 s[0:1], 0
	s_subb_u32 s0, s39, 0
	s_cmp_ge_u32 s0, s35
	v_readfirstlane_b32 s39, v4
	s_cselect_b32 s1, -1, 0
	s_cmp_ge_u32 s39, s34
	s_cselect_b32 s39, -1, 0
	s_cmp_eq_u32 s0, s35
	s_cselect_b32 s0, s39, s1
	s_add_u32 s1, s36, 1
	s_addc_u32 s39, s31, 0
	s_add_u32 s40, s36, 2
	s_addc_u32 s41, s31, 0
	s_cmp_lg_u32 s0, 0
	s_cselect_b32 s0, s40, s1
	s_cselect_b32 s1, s41, s39
	s_cmp_lg_u64 vcc, 0
	s_subb_u32 s37, s25, s37
	s_cmp_ge_u32 s37, s35
	v_readfirstlane_b32 s40, v1
	s_cselect_b32 s39, -1, 0
	s_cmp_ge_u32 s40, s34
	s_cselect_b32 s40, -1, 0
	s_cmp_eq_u32 s37, s35
	s_cselect_b32 s37, s40, s39
	s_cmp_lg_u32 s37, 0
	s_cselect_b32 s1, s1, s31
	s_cselect_b32 s0, s0, s36
	s_cbranch_execnz .LBB0_7
.LBB0_6:                                ;   in Loop: Header=BB0_4 Depth=1
	v_cvt_f32_u32_e32 v1, s34
	s_sub_i32 s0, 0, s34
	v_rcp_iflag_f32_e32 v1, v1
	s_nop 0
	v_mul_f32_e32 v1, 0x4f7ffffe, v1
	v_cvt_u32_f32_e32 v1, v1
	s_nop 0
	v_readfirstlane_b32 s1, v1
	s_mul_i32 s0, s0, s1
	s_mul_hi_u32 s0, s1, s0
	s_add_i32 s1, s1, s0
	s_mul_hi_u32 s0, s24, s1
	s_mul_i32 s31, s0, s34
	s_sub_i32 s31, s24, s31
	s_add_i32 s1, s0, 1
	s_sub_i32 s36, s31, s34
	s_cmp_ge_u32 s31, s34
	s_cselect_b32 s0, s1, s0
	s_cselect_b32 s31, s36, s31
	s_add_i32 s1, s0, 1
	s_cmp_ge_u32 s31, s34
	s_cselect_b32 s0, s1, s0
	s_mov_b32 s1, s30
.LBB0_7:                                ;   in Loop: Header=BB0_4 Depth=1
	s_mul_i32 s21, s34, s21
	s_mul_hi_u32 s31, s34, s20
	s_add_i32 s21, s31, s21
	s_mul_i32 s31, s35, s20
	s_add_i32 s21, s21, s31
	s_mul_i32 s31, s0, s35
	s_mul_hi_u32 s35, s0, s34
	s_load_dwordx2 s[36:37], s[26:27], 0x0
	s_add_i32 s31, s35, s31
	s_mul_i32 s35, s1, s34
	s_mul_i32 s20, s34, s20
	s_add_i32 s31, s31, s35
	s_mul_i32 s34, s0, s34
	s_sub_u32 s24, s24, s34
	s_subb_u32 s25, s25, s31
	s_waitcnt lgkmcnt(0)
	s_mul_i32 s25, s36, s25
	s_mul_hi_u32 s31, s36, s24
	s_add_i32 s25, s31, s25
	s_mul_i32 s31, s37, s24
	s_add_i32 s25, s25, s31
	s_mul_i32 s24, s36, s24
	s_add_u32 s38, s24, s38
	s_addc_u32 s33, s25, s33
	s_add_u32 s28, s28, 1
	s_addc_u32 s29, s29, 0
	;; [unrolled: 2-line block ×3, first 2 shown]
	s_add_u32 s12, s12, 8
	v_cmp_ge_u64_e32 vcc, s[28:29], v[2:3]
	s_addc_u32 s13, s13, 0
	s_cbranch_vccnz .LBB0_10
; %bb.8:                                ;   in Loop: Header=BB0_4 Depth=1
	s_mov_b64 s[24:25], s[0:1]
	s_branch .LBB0_4
.LBB0_9:                                ;   in Loop: Header=BB0_4 Depth=1
                                        ; implicit-def: $sgpr0_sgpr1
	s_branch .LBB0_6
.LBB0_10:
	v_mov_b64_e32 v[2:3], s[20:21]
	v_cmp_lt_u64_e32 vcc, s[2:3], v[2:3]
	s_mov_b64 s[24:25], 0
	s_cbranch_vccnz .LBB0_12
; %bb.11:
	v_cvt_f32_u32_e32 v1, s20
	s_sub_i32 s0, 0, s20
	v_rcp_iflag_f32_e32 v1, v1
	s_nop 0
	v_mul_f32_e32 v1, 0x4f7ffffe, v1
	v_cvt_u32_f32_e32 v1, v1
	s_nop 0
	v_readfirstlane_b32 s1, v1
	s_mul_i32 s0, s0, s1
	s_mul_hi_u32 s0, s1, s0
	s_add_i32 s1, s1, s0
	s_mul_hi_u32 s0, s2, s1
	s_mul_i32 s3, s0, s20
	s_sub_i32 s2, s2, s3
	s_add_i32 s1, s0, 1
	s_sub_i32 s3, s2, s20
	s_cmp_ge_u32 s2, s20
	s_cselect_b32 s0, s1, s0
	s_cselect_b32 s2, s3, s2
	s_add_i32 s1, s0, 1
	s_cmp_ge_u32 s2, s20
	s_cselect_b32 s24, s1, s0
.LBB0_12:
	s_lshl_b64 s[0:1], s[10:11], 3
	s_add_u32 s0, s14, s0
	s_addc_u32 s1, s15, s1
	s_load_dwordx2 s[0:1], s[0:1], 0x0
	v_mul_u32_u24_e32 v1, 0x1746, v0
	v_lshrrev_b32_e32 v1, 16, v1
	v_mul_lo_u16_e32 v2, 11, v1
	v_sub_u16_e32 v14, v0, v2
	s_waitcnt lgkmcnt(0)
	s_mul_i32 s1, s1, s24
	s_mul_hi_u32 s2, s0, s24
	s_mul_i32 s0, s0, s24
	s_add_i32 s1, s2, s1
	s_add_u32 s2, s0, s38
	s_addc_u32 s3, s1, s33
	s_mov_b32 s0, 0
	v_mov_b32_e32 v15, s0
	s_add_u32 s0, s22, 11
	v_lshl_add_u64 v[16:17], s[22:23], 0, v[14:15]
	s_addc_u32 s1, s23, 0
	v_mov_b64_e32 v[2:3], s[18:19]
	v_cmp_le_u64_e32 vcc, s[0:1], v[2:3]
	v_cmp_gt_u64_e64 s[0:1], s[18:19], v[16:17]
	s_or_b64 s[50:51], vcc, s[0:1]
                                        ; implicit-def: $vgpr18
                                        ; implicit-def: $vgpr20
                                        ; implicit-def: $vgpr22
                                        ; implicit-def: $vgpr24
                                        ; implicit-def: $vgpr2
                                        ; implicit-def: $vgpr4
                                        ; implicit-def: $vgpr26
                                        ; implicit-def: $vgpr28
                                        ; implicit-def: $vgpr30
                                        ; implicit-def: $vgpr32
                                        ; implicit-def: $vgpr34
	s_and_saveexec_b64 s[0:1], s[50:51]
	s_cbranch_execz .LBB0_14
; %bb.13:
	v_mad_u64_u32 v[2:3], s[10:11], s6, v14, 0
	v_mov_b32_e32 v4, v3
	v_mad_u64_u32 v[4:5], s[10:11], s7, v14, v[4:5]
	v_mov_b32_e32 v3, v4
	;; [unrolled: 2-line block ×3, first 2 shown]
	v_mad_u64_u32 v[6:7], s[10:11], s5, v1, v[6:7]
	s_lshl_b64 s[10:11], s[2:3], 3
	s_add_u32 s10, s16, s10
	s_addc_u32 s11, s17, s11
	v_mov_b32_e32 v5, v6
	v_lshl_add_u64 v[2:3], v[2:3], 3, s[10:11]
	v_add_u32_e32 v9, 11, v1
	v_lshl_add_u64 v[6:7], v[4:5], 3, v[2:3]
	v_mad_u64_u32 v[4:5], s[10:11], s4, v9, 0
	v_mov_b32_e32 v8, v5
	v_mad_u64_u32 v[8:9], s[10:11], s5, v9, v[8:9]
	v_mov_b32_e32 v5, v8
	v_add_u32_e32 v11, 22, v1
	v_lshl_add_u64 v[8:9], v[4:5], 3, v[2:3]
	v_mad_u64_u32 v[4:5], s[10:11], s4, v11, 0
	v_mov_b32_e32 v10, v5
	v_mad_u64_u32 v[10:11], s[10:11], s5, v11, v[10:11]
	v_mov_b32_e32 v5, v10
	;; [unrolled: 6-line block ×10, first 2 shown]
	v_lshl_add_u64 v[48:49], v[4:5], 3, v[2:3]
	global_load_dwordx2 v[2:3], v[6:7], off
	global_load_dwordx2 v[4:5], v[8:9], off
	global_load_dwordx2 v[26:27], v[10:11], off
	global_load_dwordx2 v[28:29], v[12:13], off
	global_load_dwordx2 v[30:31], v[36:37], off
	global_load_dwordx2 v[32:33], v[38:39], off
	global_load_dwordx2 v[34:35], v[40:41], off
	global_load_dwordx2 v[24:25], v[42:43], off
	global_load_dwordx2 v[22:23], v[44:45], off
	global_load_dwordx2 v[20:21], v[46:47], off
	global_load_dwordx2 v[18:19], v[48:49], off
.LBB0_14:
	s_or_b64 exec, exec, s[0:1]
	s_waitcnt vmcnt(9)
	v_pk_add_f32 v[36:37], v[2:3], v[4:5]
	s_waitcnt vmcnt(1)
	v_pk_add_f32 v[10:11], v[26:27], v[20:21]
	v_pk_add_f32 v[40:41], v[26:27], v[20:21] neg_lo:[0,1] neg_hi:[0,1]
	v_pk_add_f32 v[26:27], v[36:37], v[26:27]
	v_pk_add_f32 v[6:7], v[30:31], v[24:25]
	;; [unrolled: 1-line block ×3, first 2 shown]
	v_pk_add_f32 v[44:45], v[30:31], v[24:25] neg_lo:[0,1] neg_hi:[0,1]
	v_pk_add_f32 v[26:27], v[26:27], v[30:31]
	s_waitcnt vmcnt(0)
	v_pk_add_f32 v[12:13], v[4:5], v[18:19]
	v_pk_add_f32 v[26:27], v[26:27], v[32:33]
	v_pk_add_f32 v[38:39], v[4:5], v[18:19] neg_lo:[0,1] neg_hi:[0,1]
	v_pk_add_f32 v[26:27], v[26:27], v[34:35]
	v_pk_add_f32 v[8:9], v[28:29], v[22:23]
	;; [unrolled: 1-line block ×3, first 2 shown]
	v_pk_add_f32 v[42:43], v[28:29], v[22:23] neg_lo:[0,1] neg_hi:[0,1]
	v_pk_add_f32 v[22:23], v[22:23], v[24:25]
	s_mov_b32 s12, 0xbf0a6770
	v_pk_add_f32 v[20:21], v[20:21], v[22:23]
	v_mov_b32_e32 v48, v39
	v_mov_b32_e32 v49, v13
	s_mov_b32 s13, 0x3f575c64
	v_pk_add_f32 v[36:37], v[18:19], v[20:21]
	v_pk_mul_f32 v[18:19], v[48:49], s[12:13]
	v_mov_b32_e32 v13, v38
	s_mov_b32 s24, s13
	s_mov_b32 s25, s12
	v_pk_fma_f32 v[20:21], v[12:13], s[24:25], v[18:19]
	v_pk_fma_f32 v[22:23], v[12:13], s[24:25], v[18:19] neg_lo:[1,0,0] neg_hi:[1,0,0]
	s_mov_b32 s38, 0xbf68dda4
	v_mov_b32_e32 v22, v20
	v_mov_b32_e32 v38, v41
	;; [unrolled: 1-line block ×3, first 2 shown]
	s_mov_b32 s39, 0x3ed4b147
	s_movk_i32 s0, 0x3c8
	v_pk_add_f32 v[26:27], v[2:3], v[22:23]
	v_pk_mul_f32 v[22:23], v[38:39], s[38:39]
	v_mov_b32_e32 v11, v40
	s_mov_b32 s46, s39
	s_mov_b32 s47, s38
	v_mad_u32_u24 v17, v1, s0, 0
	v_pk_fma_f32 v[24:25], v[10:11], s[46:47], v[22:23]
	v_pk_fma_f32 v[28:29], v[10:11], s[46:47], v[22:23] neg_lo:[1,0,0] neg_hi:[1,0,0]
	s_mov_b32 s0, 0xbf7d64f0
	v_mov_b32_e32 v28, v24
	v_mov_b32_e32 v40, v43
	;; [unrolled: 1-line block ×3, first 2 shown]
	s_mov_b32 s1, 0xbe11bafb
	v_pk_add_f32 v[30:31], v[26:27], v[28:29]
	v_pk_mul_f32 v[26:27], v[40:41], s[0:1]
	v_mov_b32_e32 v9, v42
	s_mov_b32 s18, s1
	s_mov_b32 s19, s0
	v_pk_add_f32 v[4:5], v[32:33], v[34:35]
	v_pk_add_f32 v[46:47], v[32:33], v[34:35] neg_lo:[0,1] neg_hi:[0,1]
	v_pk_fma_f32 v[28:29], v[8:9], s[18:19], v[26:27]
	v_pk_fma_f32 v[32:33], v[8:9], s[18:19], v[26:27] neg_lo:[1,0,0] neg_hi:[1,0,0]
	s_mov_b32 s10, 0xbf4178ce
	v_mov_b32_e32 v32, v28
	v_mov_b32_e32 v42, v45
	;; [unrolled: 1-line block ×3, first 2 shown]
	s_mov_b32 s11, 0xbf27a4f4
	v_pk_add_f32 v[34:35], v[30:31], v[32:33]
	v_pk_mul_f32 v[30:31], v[42:43], s[10:11]
	v_mov_b32_e32 v7, v44
	s_mov_b32 s20, s11
	s_mov_b32 s21, s10
	v_pk_fma_f32 v[32:33], v[6:7], s[20:21], v[30:31]
	v_pk_fma_f32 v[44:45], v[6:7], s[20:21], v[30:31] neg_lo:[1,0,0] neg_hi:[1,0,0]
	s_mov_b32 s14, 0xbe903f40
	v_mov_b32_e32 v44, v32
	v_mov_b32_e32 v50, v47
	;; [unrolled: 1-line block ×3, first 2 shown]
	s_mov_b32 s15, 0xbf75a155
	v_pk_add_f32 v[44:45], v[34:35], v[44:45]
	v_pk_mul_f32 v[34:35], v[50:51], s[14:15]
	v_mov_b32_e32 v5, v46
	s_mov_b32 s22, s15
	s_mov_b32 s23, s14
	v_pk_fma_f32 v[46:47], v[4:5], s[22:23], v[34:35]
	v_pk_fma_f32 v[52:53], v[4:5], s[22:23], v[34:35] neg_lo:[1,0,0] neg_hi:[1,0,0]
	v_lshl_add_u32 v15, v14, 3, v17
	v_mov_b32_e32 v52, v46
	v_pk_add_f32 v[44:45], v[44:45], v[52:53]
	ds_write2_b64 v15, v[36:37], v[44:45] offset1:11
	v_pk_mul_f32 v[36:37], v[48:49], s[38:39]
	v_pk_mul_f32 v[54:55], v[38:39], s[10:11]
	v_pk_fma_f32 v[44:45], v[12:13], s[46:47], v[36:37]
	v_pk_fma_f32 v[52:53], v[12:13], s[46:47], v[36:37] neg_lo:[1,0,0] neg_hi:[1,0,0]
	v_pk_fma_f32 v[56:57], v[10:11], s[20:21], v[54:55]
	v_mov_b32_e32 v52, v44
	v_pk_fma_f32 v[58:59], v[10:11], s[20:21], v[54:55] neg_lo:[1,0,0] neg_hi:[1,0,0]
	v_pk_add_f32 v[52:53], v[2:3], v[52:53]
	v_mov_b32_e32 v58, v56
	s_mov_b32 s44, 0x3e903f40
	s_mov_b32 s45, s15
	v_pk_add_f32 v[52:53], v[52:53], v[58:59]
	v_pk_mul_f32 v[58:59], v[40:41], s[44:45]
	s_mov_b32 s48, s15
	s_mov_b32 s49, s44
	v_pk_fma_f32 v[60:61], v[8:9], s[48:49], v[58:59]
	v_pk_fma_f32 v[62:63], v[8:9], s[48:49], v[58:59] neg_lo:[1,0,0] neg_hi:[1,0,0]
	s_mov_b32 s34, 0x3f7d64f0
	v_mov_b32_e32 v62, v60
	s_mov_b32 s35, s1
	v_pk_add_f32 v[52:53], v[52:53], v[62:63]
	s_mov_b32 s40, s1
	s_mov_b32 s41, s34
	v_pk_mul_f32 v[62:63], v[42:43], s[34:35]
	s_mov_b32 s26, 0x3f0a6770
	v_pk_fma_f32 v[64:65], v[6:7], s[40:41], v[62:63]
	v_pk_fma_f32 v[66:67], v[6:7], s[40:41], v[62:63] neg_lo:[1,0,0] neg_hi:[1,0,0]
	s_mov_b32 s27, s13
	v_mov_b32_e32 v66, v64
	v_pk_add_f32 v[52:53], v[52:53], v[66:67]
	s_mov_b32 s30, s13
	s_mov_b32 s31, s26
	v_pk_mul_f32 v[66:67], v[50:51], s[26:27]
	v_pk_mul_f32 v[76:77], v[38:39], s[44:45]
	v_pk_fma_f32 v[68:69], v[4:5], s[30:31], v[66:67]
	v_pk_fma_f32 v[70:71], v[4:5], s[30:31], v[66:67] neg_lo:[1,0,0] neg_hi:[1,0,0]
	v_pk_fma_f32 v[78:79], v[10:11], s[48:49], v[76:77]
	v_mov_b32_e32 v70, v68
	v_pk_add_f32 v[52:53], v[52:53], v[70:71]
	v_pk_mul_f32 v[70:71], v[48:49], s[0:1]
	v_pk_fma_f32 v[80:81], v[10:11], s[48:49], v[76:77] neg_lo:[1,0,0] neg_hi:[1,0,0]
	v_pk_fma_f32 v[72:73], v[12:13], s[18:19], v[70:71]
	v_pk_fma_f32 v[74:75], v[12:13], s[18:19], v[70:71] neg_lo:[1,0,0] neg_hi:[1,0,0]
	v_mov_b32_e32 v80, v78
	v_mov_b32_e32 v74, v72
	v_pk_add_f32 v[74:75], v[2:3], v[74:75]
	s_mov_b32 s28, 0x3f68dda4
	s_mov_b32 s29, s39
	v_pk_add_f32 v[74:75], v[74:75], v[80:81]
	s_mov_b32 s36, s39
	s_mov_b32 s37, s28
	v_pk_mul_f32 v[80:81], v[40:41], s[28:29]
	v_pk_mul_f32 v[94:95], v[38:39], s[34:35]
	v_pk_fma_f32 v[82:83], v[8:9], s[36:37], v[80:81]
	v_pk_fma_f32 v[84:85], v[8:9], s[36:37], v[80:81] neg_lo:[1,0,0] neg_hi:[1,0,0]
	v_pk_fma_f32 v[96:97], v[10:11], s[40:41], v[94:95]
	v_mov_b32_e32 v84, v82
	v_pk_add_f32 v[74:75], v[74:75], v[84:85]
	v_pk_mul_f32 v[84:85], v[42:43], s[12:13]
	v_pk_fma_f32 v[98:99], v[10:11], s[40:41], v[94:95] neg_lo:[1,0,0] neg_hi:[1,0,0]
	v_pk_fma_f32 v[86:87], v[6:7], s[24:25], v[84:85]
	v_pk_fma_f32 v[88:89], v[6:7], s[24:25], v[84:85] neg_lo:[1,0,0] neg_hi:[1,0,0]
	v_mov_b32_e32 v98, v96
	v_mov_b32_e32 v88, v86
	v_pk_add_f32 v[74:75], v[74:75], v[88:89]
	v_pk_mul_f32 v[88:89], v[50:51], s[10:11]
	v_pk_mul_f32 v[38:39], v[38:39], s[26:27]
	v_pk_fma_f32 v[90:91], v[4:5], s[20:21], v[88:89]
	v_pk_fma_f32 v[92:93], v[4:5], s[20:21], v[88:89] neg_lo:[1,0,0] neg_hi:[1,0,0]
	v_pk_fma_f32 v[114:115], v[10:11], s[30:31], v[38:39]
	v_mov_b32_e32 v92, v90
	v_pk_add_f32 v[74:75], v[74:75], v[92:93]
	ds_write2_b64 v15, v[52:53], v[74:75] offset0:22 offset1:33
	v_pk_mul_f32 v[52:53], v[48:49], s[10:11]
	v_pk_mul_f32 v[48:49], v[48:49], s[14:15]
	v_pk_fma_f32 v[74:75], v[12:13], s[20:21], v[52:53]
	v_pk_fma_f32 v[92:93], v[12:13], s[20:21], v[52:53] neg_lo:[1,0,0] neg_hi:[1,0,0]
	v_pk_fma_f32 v[112:113], v[12:13], s[22:23], v[48:49] neg_lo:[1,0,0] neg_hi:[1,0,0]
	v_mov_b32_e32 v92, v74
	v_pk_add_f32 v[92:93], v[2:3], v[92:93]
	v_pk_fma_f32 v[116:117], v[10:11], s[30:31], v[38:39] neg_lo:[1,0,0] neg_hi:[1,0,0]
	v_pk_add_f32 v[92:93], v[92:93], v[98:99]
	v_pk_mul_f32 v[98:99], v[40:41], s[12:13]
	v_mov_b32_e32 v116, v114
	v_pk_fma_f32 v[100:101], v[8:9], s[24:25], v[98:99]
	v_pk_fma_f32 v[102:103], v[8:9], s[24:25], v[98:99] neg_lo:[1,0,0] neg_hi:[1,0,0]
	v_pk_mul_f32 v[40:41], v[40:41], s[10:11]
	v_mov_b32_e32 v102, v100
	v_pk_add_f32 v[92:93], v[92:93], v[102:103]
	v_pk_mul_f32 v[102:103], v[42:43], s[14:15]
	v_pk_fma_f32 v[38:39], v[10:11], s[30:31], v[38:39] neg_lo:[0,0,1] neg_hi:[0,0,1]
	v_pk_fma_f32 v[104:105], v[6:7], s[22:23], v[102:103]
	v_pk_fma_f32 v[106:107], v[6:7], s[22:23], v[102:103] neg_lo:[1,0,0] neg_hi:[1,0,0]
	v_pk_fma_f32 v[118:119], v[8:9], s[20:21], v[40:41] neg_lo:[1,0,0] neg_hi:[1,0,0]
	v_mov_b32_e32 v106, v104
	v_pk_add_f32 v[92:93], v[92:93], v[106:107]
	v_pk_mul_f32 v[106:107], v[50:51], s[28:29]
	v_mov_b32_e32 v39, v115
	v_pk_fma_f32 v[108:109], v[4:5], s[36:37], v[106:107]
	v_pk_fma_f32 v[110:111], v[4:5], s[36:37], v[106:107] neg_lo:[1,0,0] neg_hi:[1,0,0]
	v_pk_mul_f32 v[42:43], v[42:43], s[28:29]
	v_mov_b32_e32 v110, v108
	v_pk_add_f32 v[92:93], v[92:93], v[110:111]
	v_pk_fma_f32 v[110:111], v[12:13], s[22:23], v[48:49]
	v_pk_fma_f32 v[48:49], v[12:13], s[22:23], v[48:49] neg_lo:[0,0,1] neg_hi:[0,0,1]
	v_mov_b32_e32 v112, v110
	v_pk_add_f32 v[112:113], v[2:3], v[112:113]
	v_mov_b32_e32 v49, v111
	v_pk_add_f32 v[112:113], v[112:113], v[116:117]
	v_pk_fma_f32 v[116:117], v[8:9], s[20:21], v[40:41]
	v_pk_add_f32 v[48:49], v[2:3], v[48:49]
	v_pk_fma_f32 v[40:41], v[8:9], s[20:21], v[40:41] neg_lo:[0,0,1] neg_hi:[0,0,1]
	v_mov_b32_e32 v118, v116
	v_pk_add_f32 v[38:39], v[48:49], v[38:39]
	v_mov_b32_e32 v41, v117
	v_pk_add_f32 v[112:113], v[112:113], v[118:119]
	v_pk_fma_f32 v[118:119], v[6:7], s[36:37], v[42:43]
	v_pk_fma_f32 v[120:121], v[6:7], s[36:37], v[42:43] neg_lo:[1,0,0] neg_hi:[1,0,0]
	v_pk_add_f32 v[38:39], v[38:39], v[40:41]
	v_pk_fma_f32 v[40:41], v[6:7], s[36:37], v[42:43] neg_lo:[0,0,1] neg_hi:[0,0,1]
	v_mov_b32_e32 v120, v118
	v_pk_mul_f32 v[50:51], v[50:51], s[0:1]
	v_mov_b32_e32 v41, v119
	v_pk_add_f32 v[112:113], v[112:113], v[120:121]
	v_pk_fma_f32 v[120:121], v[4:5], s[18:19], v[50:51]
	v_pk_add_f32 v[38:39], v[38:39], v[40:41]
	v_pk_fma_f32 v[40:41], v[4:5], s[18:19], v[50:51] neg_lo:[0,0,1] neg_hi:[0,0,1]
	v_pk_fma_f32 v[42:43], v[10:11], s[40:41], v[94:95] neg_lo:[0,0,1] neg_hi:[0,0,1]
	v_mov_b32_e32 v41, v121
	v_pk_add_f32 v[38:39], v[38:39], v[40:41]
	v_pk_fma_f32 v[40:41], v[12:13], s[20:21], v[52:53] neg_lo:[0,0,1] neg_hi:[0,0,1]
	v_mov_b32_e32 v43, v97
	v_mov_b32_e32 v41, v75
	v_pk_add_f32 v[40:41], v[2:3], v[40:41]
	v_pk_fma_f32 v[36:37], v[12:13], s[46:47], v[36:37] neg_lo:[0,0,1] neg_hi:[0,0,1]
	v_pk_add_f32 v[40:41], v[40:41], v[42:43]
	v_pk_fma_f32 v[42:43], v[8:9], s[24:25], v[98:99] neg_lo:[0,0,1] neg_hi:[0,0,1]
	v_mov_b32_e32 v37, v45
	v_mov_b32_e32 v43, v101
	v_pk_add_f32 v[40:41], v[40:41], v[42:43]
	v_pk_fma_f32 v[42:43], v[6:7], s[22:23], v[102:103] neg_lo:[0,0,1] neg_hi:[0,0,1]
	v_pk_add_f32 v[36:37], v[2:3], v[36:37]
	v_mov_b32_e32 v43, v105
	v_pk_add_f32 v[40:41], v[40:41], v[42:43]
	v_pk_fma_f32 v[42:43], v[4:5], s[36:37], v[106:107] neg_lo:[0,0,1] neg_hi:[0,0,1]
	v_pk_fma_f32 v[122:123], v[4:5], s[18:19], v[50:51] neg_lo:[1,0,0] neg_hi:[1,0,0]
	v_mov_b32_e32 v43, v109
	v_pk_add_f32 v[40:41], v[40:41], v[42:43]
	ds_write2_b64 v15, v[38:39], v[40:41] offset0:66 offset1:77
	v_pk_fma_f32 v[38:39], v[12:13], s[18:19], v[70:71] neg_lo:[0,0,1] neg_hi:[0,0,1]
	v_pk_fma_f32 v[40:41], v[10:11], s[48:49], v[76:77] neg_lo:[0,0,1] neg_hi:[0,0,1]
	v_mov_b32_e32 v39, v73
	v_mov_b32_e32 v41, v79
	v_pk_add_f32 v[38:39], v[2:3], v[38:39]
	v_pk_fma_f32 v[12:13], v[12:13], s[24:25], v[18:19] neg_lo:[0,0,1] neg_hi:[0,0,1]
	v_pk_add_f32 v[38:39], v[38:39], v[40:41]
	v_pk_fma_f32 v[40:41], v[8:9], s[36:37], v[80:81] neg_lo:[0,0,1] neg_hi:[0,0,1]
	v_mov_b32_e32 v13, v21
	v_mov_b32_e32 v41, v83
	v_pk_add_f32 v[38:39], v[38:39], v[40:41]
	v_pk_fma_f32 v[40:41], v[6:7], s[24:25], v[84:85] neg_lo:[0,0,1] neg_hi:[0,0,1]
	v_pk_add_f32 v[2:3], v[2:3], v[12:13]
	v_mov_b32_e32 v41, v87
	v_pk_add_f32 v[38:39], v[38:39], v[40:41]
	v_pk_fma_f32 v[40:41], v[4:5], s[20:21], v[88:89] neg_lo:[0,0,1] neg_hi:[0,0,1]
	v_mov_b32_e32 v122, v120
	v_mov_b32_e32 v41, v91
	v_pk_add_f32 v[38:39], v[38:39], v[40:41]
	v_pk_fma_f32 v[40:41], v[10:11], s[20:21], v[54:55] neg_lo:[0,0,1] neg_hi:[0,0,1]
	v_pk_fma_f32 v[10:11], v[10:11], s[46:47], v[22:23] neg_lo:[0,0,1] neg_hi:[0,0,1]
	v_mov_b32_e32 v41, v57
	v_pk_add_f32 v[36:37], v[36:37], v[40:41]
	v_pk_fma_f32 v[40:41], v[8:9], s[48:49], v[58:59] neg_lo:[0,0,1] neg_hi:[0,0,1]
	v_mov_b32_e32 v11, v25
	v_mov_b32_e32 v41, v61
	v_pk_add_f32 v[36:37], v[36:37], v[40:41]
	v_pk_fma_f32 v[40:41], v[6:7], s[40:41], v[62:63] neg_lo:[0,0,1] neg_hi:[0,0,1]
	v_pk_fma_f32 v[8:9], v[8:9], s[18:19], v[26:27] neg_lo:[0,0,1] neg_hi:[0,0,1]
	v_mov_b32_e32 v41, v65
	v_pk_add_f32 v[2:3], v[2:3], v[10:11]
	v_mov_b32_e32 v9, v29
	v_pk_fma_f32 v[6:7], v[6:7], s[20:21], v[30:31] neg_lo:[0,0,1] neg_hi:[0,0,1]
	v_pk_add_f32 v[36:37], v[36:37], v[40:41]
	v_pk_fma_f32 v[40:41], v[4:5], s[30:31], v[66:67] neg_lo:[0,0,1] neg_hi:[0,0,1]
	v_pk_add_f32 v[2:3], v[2:3], v[8:9]
	v_mov_b32_e32 v7, v33
	v_pk_fma_f32 v[4:5], v[4:5], s[22:23], v[34:35] neg_lo:[0,0,1] neg_hi:[0,0,1]
	v_mov_b32_e32 v41, v69
	v_pk_add_f32 v[2:3], v[2:3], v[6:7]
	v_mov_b32_e32 v5, v47
	v_pk_add_f32 v[112:113], v[112:113], v[122:123]
	v_pk_add_f32 v[36:37], v[36:37], v[40:41]
	;; [unrolled: 1-line block ×3, first 2 shown]
	ds_write2_b64 v15, v[92:93], v[112:113] offset0:44 offset1:55
	ds_write2_b64 v15, v[38:39], v[36:37] offset0:88 offset1:99
	ds_write_b64 v15, v[2:3] offset:880
	s_waitcnt lgkmcnt(0)
	s_barrier
	s_and_saveexec_b64 s[52:53], s[50:51]
	s_cbranch_execz .LBB0_16
; %bb.15:
	v_mul_lo_u16_e32 v2, 24, v1
	v_mov_b32_e32 v3, 11
	v_mul_lo_u16_sdwa v2, v2, v3 dst_sel:DWORD dst_unused:UNUSED_PAD src0_sel:BYTE_1 src1_sel:DWORD
	v_sub_u16_e32 v2, v1, v2
	v_and_b32_e32 v15, 0xff, v2
	v_mul_u32_u24_e32 v2, 10, v15
	v_lshlrev_b32_e32 v30, 3, v2
	global_load_dwordx4 v[10:13], v30, s[42:43] offset:32
	global_load_dwordx4 v[18:21], v30, s[42:43] offset:16
	;; [unrolled: 1-line block ×3, first 2 shown]
	global_load_dwordx4 v[6:9], v30, s[42:43]
	v_mul_i32_i24_e32 v1, 0xfffffc90, v1
	v_lshlrev_b32_e32 v22, 3, v14
	v_add3_u32 v1, v17, v1, v22
	v_add_u32_e32 v17, 0xc00, v1
	v_add_u32_e32 v26, 0x1400, v1
	;; [unrolled: 1-line block ×4, first 2 shown]
	ds_read2_b64 v[22:25], v17 offset0:100 offset1:221
	ds_read2_b64 v[26:29], v26 offset0:86 offset1:207
	;; [unrolled: 1-line block ×4, first 2 shown]
	global_load_dwordx4 v[62:65], v30, s[42:43] offset:64
	v_add_u32_e32 v17, 0x6e, v15
	v_add_u32_e32 v32, 0x63, v15
	;; [unrolled: 1-line block ×3, first 2 shown]
	v_mov_b32_e32 v31, 3
	v_add_u32_e32 v34, 0x4d, v15
	v_add_u32_e32 v36, 55, v15
	v_mul_lo_u32 v17, v16, v17
	v_mul_lo_u32 v32, v16, v32
	;; [unrolled: 1-line block ×3, first 2 shown]
	v_add_u32_e32 v35, 0x42, v15
	v_mul_lo_u32 v34, v16, v34
	v_mul_lo_u32 v39, v16, v36
	v_lshlrev_b32_sdwa v30, v31, v17 dst_sel:DWORD dst_unused:UNUSED_PAD src0_sel:DWORD src1_sel:BYTE_0
	v_lshlrev_b32_sdwa v36, v31, v32 dst_sel:DWORD dst_unused:UNUSED_PAD src0_sel:DWORD src1_sel:BYTE_0
	v_lshlrev_b32_sdwa v32, v31, v32 dst_sel:DWORD dst_unused:UNUSED_PAD src0_sel:DWORD src1_sel:BYTE_1
	v_lshlrev_b32_sdwa v37, v31, v33 dst_sel:DWORD dst_unused:UNUSED_PAD src0_sel:DWORD src1_sel:BYTE_0
	v_lshlrev_b32_sdwa v33, v31, v33 dst_sel:DWORD dst_unused:UNUSED_PAD src0_sel:DWORD src1_sel:BYTE_1
	v_mul_lo_u32 v35, v16, v35
	v_lshlrev_b32_sdwa v17, v31, v17 dst_sel:DWORD dst_unused:UNUSED_PAD src0_sel:DWORD src1_sel:BYTE_1
	v_lshlrev_b32_sdwa v38, v31, v34 dst_sel:DWORD dst_unused:UNUSED_PAD src0_sel:DWORD src1_sel:BYTE_0
	v_lshlrev_b32_sdwa v34, v31, v34 dst_sel:DWORD dst_unused:UNUSED_PAD src0_sel:DWORD src1_sel:BYTE_1
	global_load_dwordx2 v[66:67], v30, s[8:9]
	global_load_dwordx2 v[68:69], v17, s[8:9] offset:2048
	global_load_dwordx2 v[70:71], v36, s[8:9]
	global_load_dwordx2 v[72:73], v32, s[8:9] offset:2048
	;; [unrolled: 2-line block ×4, first 2 shown]
	v_lshlrev_b32_sdwa v45, v31, v35 dst_sel:DWORD dst_unused:UNUSED_PAD src0_sel:DWORD src1_sel:BYTE_0
	v_lshlrev_b32_sdwa v47, v31, v35 dst_sel:DWORD dst_unused:UNUSED_PAD src0_sel:DWORD src1_sel:BYTE_1
	v_lshlrev_b32_sdwa v49, v31, v39 dst_sel:DWORD dst_unused:UNUSED_PAD src0_sel:DWORD src1_sel:BYTE_0
	s_lshl_b64 s[2:3], s[2:3], 3
	s_add_u32 s2, s16, s2
	s_addc_u32 s3, s17, s3
	s_waitcnt vmcnt(12) lgkmcnt(2)
	v_pk_mul_f32 v[32:33], v[26:27], v[12:13] op_sel:[1,0] op_sel_hi:[0,1]
	s_waitcnt vmcnt(11)
	v_mul_f32_e32 v32, v21, v23
	v_mul_f32_e32 v17, v21, v22
	s_waitcnt vmcnt(10)
	v_mov_b32_e32 v42, v3
	v_pk_mul_f32 v[34:35], v[28:29], v[2:3] op_sel:[1,0] op_sel_hi:[0,1]
	v_mul_f32_e32 v30, v25, v11
	v_mul_f32_e32 v11, v11, v24
	v_mov_b32_e32 v40, v13
	s_waitcnt lgkmcnt(1)
	v_mul_f32_e32 v34, v19, v57
	v_mul_f32_e32 v19, v19, v56
	v_mov_b32_e32 v46, v5
	v_fmac_f32_e32 v32, v20, v22
	v_fma_f32 v44, v20, v23, -v17
	v_pk_mul_f32 v[20:21], v[28:29], v[42:43] op_sel:[1,0] op_sel_hi:[0,1]
	v_mov_b32_e32 v22, v35
	v_fmac_f32_e32 v30, v10, v24
	v_fma_f32 v38, v25, v10, -v11
	v_pk_mul_f32 v[10:11], v[26:27], v[40:41] op_sel:[1,0] op_sel_hi:[0,1]
	v_mov_b32_e32 v24, v33
	v_fmac_f32_e32 v34, v18, v56
	v_fma_f32 v48, v18, v57, -v19
	s_waitcnt lgkmcnt(0)
	v_pk_mul_f32 v[18:19], v[58:59], v[46:47] op_sel:[1,0] op_sel_hi:[0,1]
	v_pk_fma_f32 v[42:43], v[28:29], v[2:3], v[20:21]
	v_pk_fma_f32 v[52:53], v[28:29], v[2:3], v[22:23] op_sel:[1,0,0] op_sel_hi:[0,1,1] neg_lo:[0,0,1] neg_hi:[0,0,1]
	v_lshlrev_b32_sdwa v2, v31, v39 dst_sel:DWORD dst_unused:UNUSED_PAD src0_sel:DWORD src1_sel:BYTE_1
	v_pk_fma_f32 v[40:41], v[26:27], v[12:13], v[10:11]
	v_pk_fma_f32 v[50:51], v[26:27], v[12:13], v[24:25] op_sel:[1,0,0] op_sel_hi:[0,1,1] neg_lo:[0,0,1] neg_hi:[0,0,1]
	global_load_dwordx2 v[10:11], v45, s[8:9]
	global_load_dwordx2 v[12:13], v47, s[8:9] offset:2048
	v_pk_fma_f32 v[46:47], v[58:59], v[4:5], v[18:19]
	global_load_dwordx2 v[18:19], v49, s[8:9]
	global_load_dwordx2 v[26:27], v2, s[8:9] offset:2048
	v_add_u32_e32 v2, 44, v15
	v_mul_lo_u32 v2, v16, v2
	v_lshlrev_b32_sdwa v3, v31, v2 dst_sel:DWORD dst_unused:UNUSED_PAD src0_sel:DWORD src1_sel:BYTE_0
	v_lshlrev_b32_sdwa v2, v31, v2 dst_sel:DWORD dst_unused:UNUSED_PAD src0_sel:DWORD src1_sel:BYTE_1
	global_load_dwordx2 v[28:29], v3, s[8:9]
	global_load_dwordx2 v[86:87], v2, s[8:9] offset:2048
	v_add_u32_e32 v2, 33, v15
	v_mul_lo_u32 v2, v16, v2
	v_lshlrev_b32_sdwa v3, v31, v2 dst_sel:DWORD dst_unused:UNUSED_PAD src0_sel:DWORD src1_sel:BYTE_0
	v_lshlrev_b32_sdwa v2, v31, v2 dst_sel:DWORD dst_unused:UNUSED_PAD src0_sel:DWORD src1_sel:BYTE_1
	;; [unrolled: 6-line block ×3, first 2 shown]
	global_load_dwordx2 v[94:95], v3, s[8:9]
	global_load_dwordx2 v[104:105], v2, s[8:9] offset:2048
	v_add_u32_e32 v2, 11, v15
	v_mul_lo_u32 v2, v16, v2
	v_lshlrev_b32_sdwa v3, v31, v2 dst_sel:DWORD dst_unused:UNUSED_PAD src0_sel:DWORD src1_sel:BYTE_0
	v_pk_mul_f32 v[36:37], v[58:59], v[4:5] op_sel:[1,0] op_sel_hi:[0,1]
	v_lshlrev_b32_sdwa v2, v31, v2 dst_sel:DWORD dst_unused:UNUSED_PAD src0_sel:DWORD src1_sel:BYTE_1
	global_load_dwordx2 v[106:107], v3, s[8:9]
	global_load_dwordx2 v[108:109], v2, s[8:9] offset:2048
	v_mov_b32_e32 v56, v37
	v_mul_lo_u32 v3, v16, v15
	v_pk_fma_f32 v[56:57], v[58:59], v[4:5], v[56:57] op_sel:[1,0,0] op_sel_hi:[0,1,1] neg_lo:[0,0,1] neg_hi:[0,0,1]
	v_lshlrev_b32_sdwa v4, v31, v3 dst_sel:DWORD dst_unused:UNUSED_PAD src0_sel:DWORD src1_sel:BYTE_0
	v_lshlrev_b32_sdwa v3, v31, v3 dst_sel:DWORD dst_unused:UNUSED_PAD src0_sel:DWORD src1_sel:BYTE_1
	global_load_dwordx2 v[114:115], v4, s[8:9]
	global_load_dwordx2 v[116:117], v3, s[8:9] offset:2048
	s_waitcnt vmcnt(23)
	v_mul_f32_e32 v2, v9, v54
	v_mul_f32_e32 v36, v9, v55
	v_fma_f32 v102, v8, v55, -v2
	s_waitcnt vmcnt(22)
	v_mov_b32_e32 v2, v63
	v_fmac_f32_e32 v36, v8, v54
	v_pk_mul_f32 v[8:9], v[60:61], v[2:3] op_sel:[1,0] op_sel_hi:[0,1]
	ds_read2_b64 v[2:5], v1 offset1:121
	v_pk_fma_f32 v[92:93], v[60:61], v[62:63], v[8:9]
	v_pk_mul_f32 v[8:9], v[60:61], v[62:63] op_sel:[1,0] op_sel_hi:[0,1]
	v_mov_b32_e32 v8, v9
	v_pk_fma_f32 v[100:101], v[60:61], v[62:63], v[8:9] op_sel:[1,0,0] op_sel_hi:[0,1,1] neg_lo:[0,0,1] neg_hi:[0,0,1]
	ds_read_b64 v[8:9], v1 offset:9680
	s_waitcnt lgkmcnt(1)
	v_mul_f32_e32 v98, v7, v5
	v_fmac_f32_e32 v98, v6, v4
	v_mul_f32_e32 v1, v7, v4
	v_mov_b32_e32 v4, v65
	v_fma_f32 v112, v6, v5, -v1
	s_waitcnt lgkmcnt(0)
	v_pk_mul_f32 v[4:5], v[8:9], v[4:5] op_sel:[1,0] op_sel_hi:[0,1]
	v_pk_fma_f32 v[96:97], v[8:9], v[64:65], v[4:5]
	v_pk_mul_f32 v[4:5], v[8:9], v[64:65] op_sel:[1,0] op_sel_hi:[0,1]
	v_mov_b32_e32 v4, v5
	v_pk_fma_f32 v[110:111], v[8:9], v[64:65], v[4:5] op_sel:[1,0,0] op_sel_hi:[0,1,1] neg_lo:[0,0,1] neg_hi:[0,0,1]
	s_waitcnt vmcnt(20)
	v_mov_b32_e32 v4, v69
	v_pk_mul_f32 v[4:5], v[66:67], v[4:5] op_sel:[1,0] op_sel_hi:[0,1]
	v_pk_fma_f32 v[78:79], v[66:67], v[68:69], v[4:5] neg_lo:[0,0,1] neg_hi:[0,0,1]
	v_pk_mul_f32 v[4:5], v[66:67], v[68:69] op_sel:[1,0] op_sel_hi:[0,1]
	v_mov_b32_e32 v4, v5
	v_pk_fma_f32 v[76:77], v[66:67], v[68:69], v[4:5] op_sel:[1,0,0] op_sel_hi:[0,1,1]
	s_waitcnt vmcnt(18)
	v_mov_b32_e32 v4, v73
	v_pk_mul_f32 v[4:5], v[70:71], v[4:5] op_sel:[1,0] op_sel_hi:[0,1]
	v_pk_fma_f32 v[54:55], v[70:71], v[72:73], v[4:5] neg_lo:[0,0,1] neg_hi:[0,0,1]
	v_pk_mul_f32 v[4:5], v[70:71], v[72:73] op_sel:[1,0] op_sel_hi:[0,1]
	v_mov_b32_e32 v4, v5
	v_pk_fma_f32 v[58:59], v[70:71], v[72:73], v[4:5] op_sel:[1,0,0] op_sel_hi:[0,1,1]
	;; [unrolled: 7-line block ×4, first 2 shown]
	v_pk_add_f32 v[62:63], v[30:31], v[40:41] neg_lo:[0,1] neg_hi:[0,1]
	v_pk_add_f32 v[72:73], v[102:103], v[100:101]
	v_pk_add_f32 v[84:85], v[98:99], v[96:97]
	;; [unrolled: 1-line block ×3, first 2 shown]
	s_waitcnt vmcnt(12)
	v_mov_b32_e32 v4, v13
	v_pk_mul_f32 v[4:5], v[10:11], v[4:5] op_sel:[1,0] op_sel_hi:[0,1]
	v_pk_fma_f32 v[8:9], v[10:11], v[12:13], v[4:5] neg_lo:[0,0,1] neg_hi:[0,0,1]
	v_pk_mul_f32 v[4:5], v[10:11], v[12:13] op_sel:[1,0] op_sel_hi:[0,1]
	v_mov_b32_e32 v4, v5
	v_pk_fma_f32 v[10:11], v[10:11], v[12:13], v[4:5] op_sel:[1,0,0] op_sel_hi:[0,1,1]
	s_waitcnt vmcnt(10)
	v_mov_b32_e32 v4, v27
	v_pk_mul_f32 v[6:7], v[18:19], v[26:27] op_sel:[1,0] op_sel_hi:[0,1]
	v_pk_mul_f32 v[4:5], v[18:19], v[4:5] op_sel:[1,0] op_sel_hi:[0,1]
	v_mov_b32_e32 v6, v7
	v_pk_fma_f32 v[4:5], v[18:19], v[26:27], v[4:5] neg_lo:[0,0,1] neg_hi:[0,0,1]
	v_pk_fma_f32 v[6:7], v[18:19], v[26:27], v[6:7] op_sel:[1,0,0] op_sel_hi:[0,1,1]
	s_waitcnt vmcnt(8)
	v_mov_b32_e32 v12, v87
	v_pk_mul_f32 v[18:19], v[28:29], v[86:87] op_sel:[1,0] op_sel_hi:[0,1]
	v_pk_mul_f32 v[12:13], v[28:29], v[12:13] op_sel:[1,0] op_sel_hi:[0,1]
	v_mov_b32_e32 v18, v19
	v_pk_fma_f32 v[12:13], v[28:29], v[86:87], v[12:13] neg_lo:[0,0,1] neg_hi:[0,0,1]
	s_waitcnt vmcnt(4)
	v_mov_b32_e32 v60, v105
	v_pk_mul_f32 v[60:61], v[94:95], v[60:61] op_sel:[1,0] op_sel_hi:[0,1]
	v_pk_fma_f32 v[66:67], v[94:95], v[104:105], v[60:61] neg_lo:[0,0,1] neg_hi:[0,0,1]
	v_pk_mul_f32 v[60:61], v[94:95], v[104:105] op_sel:[1,0] op_sel_hi:[0,1]
	v_mov_b32_e32 v60, v61
	v_pk_fma_f32 v[68:69], v[94:95], v[104:105], v[60:61] op_sel:[1,0,0] op_sel_hi:[0,1,1]
	s_waitcnt vmcnt(2)
	v_mov_b32_e32 v60, v109
	v_pk_mul_f32 v[60:61], v[106:107], v[60:61] op_sel:[1,0] op_sel_hi:[0,1]
	v_pk_fma_f32 v[104:105], v[106:107], v[108:109], v[60:61] neg_lo:[0,0,1] neg_hi:[0,0,1]
	v_pk_mul_f32 v[60:61], v[106:107], v[108:109] op_sel:[1,0] op_sel_hi:[0,1]
	v_mov_b32_e32 v60, v61
	v_pk_fma_f32 v[108:109], v[106:107], v[108:109], v[60:61] op_sel:[1,0,0] op_sel_hi:[0,1,1]
	s_waitcnt vmcnt(0)
	v_mul_f32_e32 v1, v115, v117
	v_fma_f32 v33, v114, v116, -v1
	v_mul_f32_e32 v35, v114, v117
	v_pk_add_f32 v[60:61], v[30:31], v[40:41]
	v_fmac_f32_e32 v35, v115, v116
	v_mov_b32_e32 v61, v62
	v_pk_add_f32 v[62:63], v[32:33], v[42:43]
	v_pk_add_f32 v[64:65], v[32:33], v[42:43] neg_lo:[0,1] neg_hi:[0,1]
	v_pk_add_f32 v[70:71], v[34:35], v[46:47]
	v_mov_b32_e32 v63, v64
	v_pk_add_f32 v[64:65], v[34:35], v[46:47] neg_lo:[0,1] neg_hi:[0,1]
	v_pk_fma_f32 v[18:19], v[28:29], v[86:87], v[18:19] op_sel:[1,0,0] op_sel_hi:[0,1,1]
	v_mov_b32_e32 v71, v64
	v_pk_add_f32 v[64:65], v[36:37], v[92:93] neg_lo:[0,1] neg_hi:[0,1]
	v_mov_b32_e32 v26, v91
	v_mov_b32_e32 v65, v72
	v_pk_add_f32 v[72:73], v[98:99], v[96:97] neg_lo:[0,1] neg_hi:[0,1]
	v_pk_mul_f32 v[28:29], v[88:89], v[90:91] op_sel:[1,0] op_sel_hi:[0,1]
	v_mov_b32_e32 v85, v72
	v_pk_add_f32 v[86:87], v[112:113], v[110:111] neg_lo:[0,1] neg_hi:[0,1]
	v_pk_add_f32 v[72:73], v[112:113], v[110:111]
	v_pk_mul_f32 v[26:27], v[88:89], v[26:27] op_sel:[1,0] op_sel_hi:[0,1]
	v_mov_b32_e32 v28, v29
	v_mov_b32_e32 v75, v64
	v_pk_add_f32 v[80:81], v[102:103], v[100:101] neg_lo:[0,1] neg_hi:[0,1]
	v_pk_mul_f32 v[120:121], v[84:85], s[24:25]
	v_mov_b32_e32 v73, v72
	v_mov_b32_e32 v72, v86
	v_pk_fma_f32 v[26:27], v[88:89], v[90:91], v[26:27] neg_lo:[0,0,1] neg_hi:[0,0,1]
	v_pk_fma_f32 v[28:29], v[88:89], v[90:91], v[28:29] op_sel:[1,0,0] op_sel_hi:[0,1,1]
	v_pk_mul_f32 v[116:117], v[74:75], s[46:47]
	v_mov_b32_e32 v64, v80
	v_pk_fma_f32 v[88:89], v[86:87], s[12:13], v[120:121] neg_lo:[1,0,0] neg_hi:[1,0,0]
	v_pk_fma_f32 v[122:123], v[72:73], s[12:13], v[120:121]
	v_pk_fma_f32 v[82:83], v[80:81], s[38:39], v[116:117] neg_lo:[1,0,0] neg_hi:[1,0,0]
	v_pk_fma_f32 v[118:119], v[64:65], s[38:39], v[116:117]
	v_mov_b32_e32 v89, v123
	v_mov_b32_e32 v83, v119
	v_pk_add_f32 v[88:89], v[88:89], v[2:3]
	v_pk_add_f32 v[94:95], v[48:49], v[56:57] neg_lo:[0,1] neg_hi:[0,1]
	v_pk_add_f32 v[88:89], v[82:83], v[88:89]
	v_pk_add_f32 v[82:83], v[48:49], v[56:57]
	v_pk_mul_f32 v[124:125], v[70:71], s[18:19]
	v_mov_b32_e32 v83, v82
	v_mov_b32_e32 v82, v94
	v_pk_fma_f32 v[90:91], v[94:95], s[0:1], v[124:125] neg_lo:[1,0,0] neg_hi:[1,0,0]
	v_pk_fma_f32 v[126:127], v[82:83], s[0:1], v[124:125]
	v_pk_add_f32 v[106:107], v[44:45], v[52:53] neg_lo:[0,1] neg_hi:[0,1]
	v_mov_b32_e32 v91, v127
	v_pk_add_f32 v[90:91], v[90:91], v[88:89]
	v_pk_add_f32 v[88:89], v[44:45], v[52:53]
	v_pk_mul_f32 v[128:129], v[62:63], s[20:21]
	v_mov_b32_e32 v89, v88
	v_mov_b32_e32 v88, v106
	v_pk_fma_f32 v[114:115], v[106:107], s[10:11], v[128:129] neg_lo:[1,0,0] neg_hi:[1,0,0]
	v_pk_fma_f32 v[130:131], v[88:89], s[10:11], v[128:129]
	v_pk_mul_f32 v[134:135], v[60:61], s[22:23]
	v_mov_b32_e32 v115, v131
	v_pk_add_f32 v[132:133], v[114:115], v[90:91]
	v_pk_add_f32 v[90:91], v[38:39], v[50:51]
	v_pk_add_f32 v[114:115], v[38:39], v[50:51] neg_lo:[0,1] neg_hi:[0,1]
	v_mov_b32_e32 v91, v90
	v_mov_b32_e32 v90, v114
	v_pk_fma_f32 v[136:137], v[114:115], s[14:15], v[134:135] neg_lo:[1,0,0] neg_hi:[1,0,0]
	v_pk_fma_f32 v[138:139], v[90:91], s[14:15], v[134:135]
	s_nop 0
	v_mov_b32_e32 v137, v139
	v_pk_add_f32 v[132:133], v[136:137], v[132:133]
	s_nop 0
	v_pk_mul_f32 v[136:137], v[132:133], v[76:77] op_sel_hi:[1,0]
	s_nop 0
	v_pk_fma_f32 v[76:77], v[132:133], v[78:79], v[136:137] op_sel:[0,0,1] op_sel_hi:[1,1,0]
	v_pk_fma_f32 v[78:79], v[132:133], v[78:79], v[136:137] op_sel:[0,0,1] op_sel_hi:[1,0,0] neg_lo:[0,0,1] neg_hi:[0,0,1]
	v_mad_u64_u32 v[132:133], s[8:9], s6, v14, 0
	v_mov_b32_e32 v78, v133
	v_mad_u64_u32 v[136:137], s[6:7], s7, v14, v[78:79]
	s_movk_i32 s6, 0x21e
	s_movk_i32 s7, 0x79
	v_mul_u32_u24_sdwa v1, v0, s6 dst_sel:DWORD dst_unused:UNUSED_PAD src0_sel:WORD_0 src1_sel:DWORD
	v_mul_lo_u16_sdwa v1, v1, s7 dst_sel:DWORD dst_unused:UNUSED_PAD src0_sel:WORD_1 src1_sel:DWORD
	v_sub_u16_e32 v1, v0, v1
	v_sub_u32_e32 v0, v0, v1
	v_add_u32_e32 v37, v0, v15
	v_mad_u64_u32 v[0:1], s[6:7], s4, v37, 0
	v_mov_b32_e32 v14, v1
	v_mad_u64_u32 v[14:15], s[6:7], s5, v37, v[14:15]
	v_add_u32_e32 v31, 11, v37
	v_mov_b32_e32 v1, v14
	v_mad_u64_u32 v[14:15], s[6:7], s4, v31, 0
	v_mov_b32_e32 v78, v15
	v_mov_b32_e32 v133, v136
	v_mad_u64_u32 v[136:137], s[6:7], s5, v31, v[78:79]
	v_add_u32_e32 v31, 22, v37
	v_mov_b32_e32 v15, v136
	v_mad_u64_u32 v[136:137], s[6:7], s4, v31, 0
	v_mov_b32_e32 v78, v137
	v_mad_u64_u32 v[140:141], s[6:7], s5, v31, v[78:79]
	v_add_u32_e32 v31, 33, v37
	v_mov_b32_e32 v137, v140
	v_mad_u64_u32 v[140:141], s[6:7], s4, v31, 0
	;; [unrolled: 5-line block ×7, first 2 shown]
	v_mov_b32_e32 v78, v151
	v_mad_u64_u32 v[152:153], s[6:7], s5, v31, v[78:79]
	v_add_f32_e32 v31, v112, v3
	v_add_f32_e32 v31, v31, v102
	;; [unrolled: 1-line block ×20, first 2 shown]
	v_mul_f32_e32 v30, v32, v35
	v_fma_f32 v31, v38, v33, -v30
	v_mul_f32_e32 v30, v38, v35
	v_lshl_add_u64 v[38:39], v[132:133], 3, s[2:3]
	v_fmac_f32_e32 v30, v32, v33
	v_lshl_add_u64 v[0:1], v[0:1], 3, v[38:39]
	global_store_dwordx2 v[0:1], v[30:31], off
	v_add_u32_e32 v31, 0x63, v37
	v_mad_u64_u32 v[0:1], s[2:3], s4, v31, 0
	v_mov_b32_e32 v30, v1
	v_mad_u64_u32 v[30:31], s[2:3], s5, v31, v[30:31]
	v_add_u32_e32 v31, 0x6e, v37
	v_mad_u64_u32 v[40:41], s[2:3], s4, v31, 0
	v_mov_b32_e32 v1, v30
	v_mov_b32_e32 v30, v41
	v_mad_u64_u32 v[30:31], s[2:3], s5, v31, v[30:31]
	v_mov_b32_e32 v151, v152
	v_mov_b32_e32 v41, v30
	v_lshl_add_u64 v[42:43], v[14:15], 3, v[38:39]
	v_lshl_add_u64 v[44:45], v[136:137], 3, v[38:39]
	;; [unrolled: 1-line block ×10, first 2 shown]
	v_pk_fma_f32 v[38:39], v[90:91], s[14:15], v[134:135] neg_lo:[0,0,1] neg_hi:[0,0,1]
	v_pk_mul_f32 v[98:99], v[74:75], s[20:21]
	v_mov_b32_e32 v139, v39
	v_pk_fma_f32 v[38:39], v[88:89], s[10:11], v[128:129] neg_lo:[0,0,1] neg_hi:[0,0,1]
	v_pk_fma_f32 v[100:101], v[80:81], s[10:11], v[98:99] neg_lo:[1,0,0] neg_hi:[1,0,0]
	v_mov_b32_e32 v131, v39
	v_pk_fma_f32 v[38:39], v[82:83], s[0:1], v[124:125] neg_lo:[0,0,1] neg_hi:[0,0,1]
	v_pk_fma_f32 v[102:103], v[64:65], s[10:11], v[98:99]
	v_mov_b32_e32 v127, v39
	v_pk_fma_f32 v[38:39], v[64:65], s[38:39], v[116:117] neg_lo:[0,0,1] neg_hi:[0,0,1]
	v_pk_mul_f32 v[92:93], v[70:71], s[48:49]
	v_mov_b32_e32 v119, v39
	v_pk_fma_f32 v[38:39], v[72:73], s[12:13], v[120:121] neg_lo:[0,0,1] neg_hi:[0,0,1]
	v_mov_b32_e32 v101, v103
	v_mov_b32_e32 v123, v39
	v_pk_add_f32 v[38:39], v[122:123], v[2:3]
	v_pk_fma_f32 v[96:97], v[94:95], s[44:45], v[92:93] neg_lo:[1,0,0] neg_hi:[1,0,0]
	v_pk_add_f32 v[38:39], v[118:119], v[38:39]
	v_mov_b32_e32 v77, v79
	v_pk_add_f32 v[38:39], v[126:127], v[38:39]
	s_nop 0
	v_pk_add_f32 v[38:39], v[130:131], v[38:39]
	s_nop 0
	;; [unrolled: 2-line block ×3, first 2 shown]
	v_pk_mul_f32 v[40:41], v[38:39], v[108:109] op_sel_hi:[1,0]
	s_nop 0
	v_pk_fma_f32 v[50:51], v[38:39], v[104:105], v[40:41] op_sel:[0,0,1] op_sel_hi:[1,1,0]
	v_pk_fma_f32 v[38:39], v[38:39], v[104:105], v[40:41] op_sel:[0,0,1] op_sel_hi:[1,0,0] neg_lo:[0,0,1] neg_hi:[0,0,1]
	v_pk_mul_f32 v[104:105], v[84:85], s[46:47]
	v_mov_b32_e32 v51, v39
	v_pk_mul_f32 v[38:39], v[60:61], s[30:31]
	v_pk_fma_f32 v[108:109], v[86:87], s[38:39], v[104:105] neg_lo:[1,0,0] neg_hi:[1,0,0]
	v_pk_fma_f32 v[110:111], v[72:73], s[38:39], v[104:105]
	global_store_dwordx2 v[42:43], v[50:51], off
	v_pk_fma_f32 v[40:41], v[114:115], s[26:27], v[38:39] neg_lo:[1,0,0] neg_hi:[1,0,0]
	v_pk_fma_f32 v[42:43], v[90:91], s[26:27], v[38:39]
	v_pk_mul_f32 v[50:51], v[62:63], s[40:41]
	v_mov_b32_e32 v109, v111
	v_pk_fma_f32 v[38:39], v[90:91], s[26:27], v[38:39] neg_lo:[0,0,1] neg_hi:[0,0,1]
	v_mov_b32_e32 v41, v43
	v_pk_fma_f32 v[52:53], v[106:107], s[34:35], v[50:51] neg_lo:[1,0,0] neg_hi:[1,0,0]
	v_pk_fma_f32 v[56:57], v[88:89], s[34:35], v[50:51]
	v_pk_add_f32 v[108:109], v[108:109], v[2:3]
	v_mov_b32_e32 v43, v39
	v_pk_fma_f32 v[38:39], v[88:89], s[34:35], v[50:51] neg_lo:[0,0,1] neg_hi:[0,0,1]
	v_mov_b32_e32 v53, v57
	v_pk_add_f32 v[100:101], v[100:101], v[108:109]
	v_pk_fma_f32 v[108:109], v[82:83], s[44:45], v[92:93]
	v_mov_b32_e32 v57, v39
	v_pk_fma_f32 v[38:39], v[82:83], s[44:45], v[92:93] neg_lo:[0,0,1] neg_hi:[0,0,1]
	v_mov_b32_e32 v97, v109
	v_mov_b32_e32 v109, v39
	v_pk_fma_f32 v[38:39], v[64:65], s[10:11], v[98:99] neg_lo:[0,0,1] neg_hi:[0,0,1]
	v_pk_add_f32 v[96:97], v[96:97], v[100:101]
	v_mov_b32_e32 v103, v39
	v_pk_fma_f32 v[38:39], v[72:73], s[38:39], v[104:105] neg_lo:[0,0,1] neg_hi:[0,0,1]
	v_pk_mul_f32 v[100:101], v[84:85], s[18:19]
	v_mov_b32_e32 v111, v39
	v_pk_add_f32 v[38:39], v[110:111], v[2:3]
	v_pk_add_f32 v[52:53], v[52:53], v[96:97]
	;; [unrolled: 1-line block ×3, first 2 shown]
	v_pk_mul_f32 v[92:93], v[74:75], s[48:49]
	v_pk_add_f32 v[38:39], v[108:109], v[38:39]
	v_pk_fma_f32 v[102:103], v[86:87], s[0:1], v[100:101] neg_lo:[1,0,0] neg_hi:[1,0,0]
	v_pk_add_f32 v[38:39], v[56:57], v[38:39]
	v_pk_fma_f32 v[104:105], v[72:73], s[0:1], v[100:101]
	v_pk_add_f32 v[38:39], v[42:43], v[38:39]
	v_pk_add_f32 v[40:41], v[40:41], v[52:53]
	v_pk_mul_f32 v[42:43], v[38:39], v[68:69] op_sel_hi:[1,0]
	v_pk_mul_f32 v[56:57], v[70:71], s[36:37]
	v_pk_fma_f32 v[50:51], v[38:39], v[66:67], v[42:43] op_sel:[0,0,1] op_sel_hi:[1,1,0]
	v_pk_fma_f32 v[38:39], v[38:39], v[66:67], v[42:43] op_sel:[0,0,1] op_sel_hi:[1,0,0] neg_lo:[0,0,1] neg_hi:[0,0,1]
	v_pk_fma_f32 v[96:97], v[80:81], s[44:45], v[92:93] neg_lo:[1,0,0] neg_hi:[1,0,0]
	v_mov_b32_e32 v51, v39
	v_pk_fma_f32 v[98:99], v[64:65], s[44:45], v[92:93]
	v_mov_b32_e32 v103, v105
	v_pk_mul_f32 v[52:53], v[40:41], v[58:59] op_sel_hi:[1,0]
	global_store_dwordx2 v[44:45], v[50:51], off
	v_pk_mul_f32 v[50:51], v[62:63], s[24:25]
	v_pk_fma_f32 v[66:67], v[94:95], s[28:29], v[56:57] neg_lo:[1,0,0] neg_hi:[1,0,0]
	v_pk_fma_f32 v[68:69], v[82:83], s[28:29], v[56:57]
	v_mov_b32_e32 v97, v99
	v_pk_add_f32 v[102:103], v[102:103], v[2:3]
	v_pk_fma_f32 v[58:59], v[40:41], v[54:55], v[52:53] op_sel:[0,0,1] op_sel_hi:[1,1,0]
	v_pk_fma_f32 v[40:41], v[40:41], v[54:55], v[52:53] op_sel:[0,0,1] op_sel_hi:[1,0,0] neg_lo:[0,0,1] neg_hi:[0,0,1]
	v_pk_mul_f32 v[38:39], v[60:61], s[20:21]
	v_pk_fma_f32 v[52:53], v[106:107], s[12:13], v[50:51] neg_lo:[1,0,0] neg_hi:[1,0,0]
	v_pk_fma_f32 v[54:55], v[88:89], s[12:13], v[50:51]
	v_mov_b32_e32 v67, v69
	v_pk_add_f32 v[96:97], v[96:97], v[102:103]
	v_pk_fma_f32 v[42:43], v[114:115], s[10:11], v[38:39] neg_lo:[1,0,0] neg_hi:[1,0,0]
	v_pk_fma_f32 v[44:45], v[90:91], s[10:11], v[38:39]
	v_mov_b32_e32 v53, v55
	v_pk_add_f32 v[66:67], v[66:67], v[96:97]
	v_mov_b32_e32 v43, v45
	v_pk_add_f32 v[52:53], v[52:53], v[66:67]
	;; [unrolled: 2-line block ×3, first 2 shown]
	s_nop 0
	v_pk_mul_f32 v[24:25], v[42:43], v[24:25] op_sel_hi:[1,0]
	s_nop 0
	v_pk_fma_f32 v[52:53], v[42:43], v[22:23], v[24:25] op_sel:[0,0,1] op_sel_hi:[1,1,0]
	v_pk_fma_f32 v[22:23], v[42:43], v[22:23], v[24:25] op_sel:[0,0,1] op_sel_hi:[1,0,0] neg_lo:[0,0,1] neg_hi:[0,0,1]
	v_pk_fma_f32 v[24:25], v[90:91], s[10:11], v[38:39] neg_lo:[0,0,1] neg_hi:[0,0,1]
	v_mov_b32_e32 v53, v23
	v_mov_b32_e32 v45, v25
	v_pk_fma_f32 v[24:25], v[88:89], s[12:13], v[50:51] neg_lo:[0,0,1] neg_hi:[0,0,1]
	s_nop 0
	v_mov_b32_e32 v55, v25
	v_pk_fma_f32 v[24:25], v[82:83], s[28:29], v[56:57] neg_lo:[0,0,1] neg_hi:[0,0,1]
	v_pk_mul_f32 v[56:57], v[74:75], s[40:41]
	v_mov_b32_e32 v69, v25
	v_pk_fma_f32 v[24:25], v[64:65], s[44:45], v[92:93] neg_lo:[0,0,1] neg_hi:[0,0,1]
	v_pk_mul_f32 v[92:93], v[84:85], s[20:21]
	v_mov_b32_e32 v99, v25
	v_pk_fma_f32 v[24:25], v[72:73], s[0:1], v[100:101] neg_lo:[0,0,1] neg_hi:[0,0,1]
	v_pk_fma_f32 v[96:97], v[86:87], s[10:11], v[92:93] neg_lo:[1,0,0] neg_hi:[1,0,0]
	v_mov_b32_e32 v105, v25
	v_pk_add_f32 v[24:25], v[104:105], v[2:3]
	v_pk_fma_f32 v[66:67], v[80:81], s[34:35], v[56:57] neg_lo:[1,0,0] neg_hi:[1,0,0]
	v_pk_add_f32 v[24:25], v[98:99], v[24:25]
	v_pk_fma_f32 v[98:99], v[72:73], s[10:11], v[92:93]
	v_pk_add_f32 v[24:25], v[68:69], v[24:25]
	v_pk_fma_f32 v[68:69], v[64:65], s[34:35], v[56:57]
	v_pk_add_f32 v[24:25], v[54:55], v[24:25]
	v_mov_b32_e32 v97, v99
	v_pk_add_f32 v[24:25], v[44:45], v[24:25]
	v_mov_b32_e32 v67, v69
	v_pk_mul_f32 v[28:29], v[24:25], v[28:29] op_sel_hi:[1,0]
	v_pk_add_f32 v[96:97], v[96:97], v[2:3]
	v_pk_fma_f32 v[38:39], v[24:25], v[26:27], v[28:29] op_sel:[0,0,1] op_sel_hi:[1,1,0]
	v_pk_fma_f32 v[24:25], v[24:25], v[26:27], v[28:29] op_sel:[0,0,1] op_sel_hi:[1,0,0] neg_lo:[0,0,1] neg_hi:[0,0,1]
	v_pk_add_f32 v[66:67], v[66:67], v[96:97]
	v_mov_b32_e32 v39, v25
	global_store_dwordx2 v[46:47], v[38:39], off
	v_pk_mul_f32 v[46:47], v[70:71], s[24:25]
	v_pk_mul_f32 v[38:39], v[62:63], s[22:23]
	v_pk_fma_f32 v[50:51], v[94:95], s[12:13], v[46:47] neg_lo:[1,0,0] neg_hi:[1,0,0]
	v_pk_fma_f32 v[54:55], v[82:83], s[12:13], v[46:47]
	v_pk_mul_f32 v[24:25], v[60:61], s[36:37]
	v_pk_fma_f32 v[42:43], v[106:107], s[14:15], v[38:39] neg_lo:[1,0,0] neg_hi:[1,0,0]
	v_pk_fma_f32 v[44:45], v[88:89], s[14:15], v[38:39]
	v_mov_b32_e32 v51, v55
	v_pk_fma_f32 v[26:27], v[114:115], s[28:29], v[24:25] neg_lo:[1,0,0] neg_hi:[1,0,0]
	v_pk_fma_f32 v[28:29], v[90:91], s[28:29], v[24:25]
	v_mov_b32_e32 v43, v45
	v_pk_add_f32 v[50:51], v[50:51], v[66:67]
	v_mov_b32_e32 v27, v29
	v_pk_add_f32 v[42:43], v[42:43], v[50:51]
	s_nop 0
	v_pk_add_f32 v[26:27], v[26:27], v[42:43]
	s_nop 0
	v_pk_mul_f32 v[20:21], v[26:27], v[20:21] op_sel_hi:[1,0]
	s_nop 0
	v_pk_fma_f32 v[42:43], v[26:27], v[16:17], v[20:21] op_sel:[0,0,1] op_sel_hi:[1,1,0]
	v_pk_fma_f32 v[16:17], v[26:27], v[16:17], v[20:21] op_sel:[0,0,1] op_sel_hi:[1,0,0] neg_lo:[0,0,1] neg_hi:[0,0,1]
	v_pk_fma_f32 v[20:21], v[90:91], s[28:29], v[24:25] neg_lo:[0,0,1] neg_hi:[0,0,1]
	v_mov_b32_e32 v43, v17
	v_mov_b32_e32 v29, v21
	v_pk_fma_f32 v[20:21], v[88:89], s[14:15], v[38:39] neg_lo:[0,0,1] neg_hi:[0,0,1]
	v_pk_mul_f32 v[38:39], v[70:71], s[20:21]
	v_mov_b32_e32 v45, v21
	v_pk_fma_f32 v[20:21], v[82:83], s[12:13], v[46:47] neg_lo:[0,0,1] neg_hi:[0,0,1]
	v_pk_fma_f32 v[46:47], v[82:83], s[10:11], v[38:39]
	v_mov_b32_e32 v55, v21
	v_pk_fma_f32 v[20:21], v[64:65], s[34:35], v[56:57] neg_lo:[0,0,1] neg_hi:[0,0,1]
	v_pk_mul_f32 v[56:57], v[84:85], s[22:23]
	v_mov_b32_e32 v69, v21
	v_pk_fma_f32 v[20:21], v[72:73], s[10:11], v[92:93] neg_lo:[0,0,1] neg_hi:[0,0,1]
	s_nop 0
	v_mov_b32_e32 v99, v21
	v_pk_add_f32 v[20:21], v[98:99], v[2:3]
	s_nop 0
	v_pk_add_f32 v[20:21], v[68:69], v[20:21]
	s_nop 0
	v_pk_add_f32 v[20:21], v[54:55], v[20:21]
	s_nop 0
	v_pk_add_f32 v[20:21], v[44:45], v[20:21]
	v_pk_fma_f32 v[44:45], v[94:95], s[10:11], v[38:39] neg_lo:[1,0,0] neg_hi:[1,0,0]
	v_pk_add_f32 v[20:21], v[28:29], v[20:21]
	v_mov_b32_e32 v45, v47
	v_pk_mul_f32 v[18:19], v[20:21], v[18:19] op_sel_hi:[1,0]
	s_nop 0
	v_pk_fma_f32 v[24:25], v[20:21], v[12:13], v[18:19] op_sel:[0,0,1] op_sel_hi:[1,1,0]
	v_pk_fma_f32 v[12:13], v[20:21], v[12:13], v[18:19] op_sel:[0,0,1] op_sel_hi:[1,0,0] neg_lo:[0,0,1] neg_hi:[0,0,1]
	s_nop 0
	v_mov_b32_e32 v25, v13
	global_store_dwordx2 v[48:49], v[24:25], off
	v_pk_mul_f32 v[12:13], v[60:61], s[18:19]
	v_pk_mul_f32 v[24:25], v[62:63], s[36:37]
	;; [unrolled: 1-line block ×3, first 2 shown]
	v_pk_fma_f32 v[60:61], v[86:87], s[14:15], v[56:57] neg_lo:[1,0,0] neg_hi:[1,0,0]
	v_pk_fma_f32 v[62:63], v[72:73], s[14:15], v[56:57]
	v_pk_fma_f32 v[50:51], v[80:81], s[26:27], v[48:49] neg_lo:[1,0,0] neg_hi:[1,0,0]
	v_pk_fma_f32 v[54:55], v[64:65], s[26:27], v[48:49]
	v_mov_b32_e32 v61, v63
	v_mov_b32_e32 v51, v55
	v_pk_add_f32 v[60:61], v[60:61], v[2:3]
	v_pk_fma_f32 v[26:27], v[106:107], s[28:29], v[24:25] neg_lo:[1,0,0] neg_hi:[1,0,0]
	v_pk_fma_f32 v[28:29], v[88:89], s[28:29], v[24:25]
	v_pk_add_f32 v[50:51], v[50:51], v[60:61]
	v_pk_fma_f32 v[18:19], v[114:115], s[0:1], v[12:13] neg_lo:[1,0,0] neg_hi:[1,0,0]
	v_pk_fma_f32 v[20:21], v[90:91], s[0:1], v[12:13]
	v_mov_b32_e32 v27, v29
	v_pk_add_f32 v[44:45], v[44:45], v[50:51]
	v_mov_b32_e32 v19, v21
	v_pk_add_f32 v[26:27], v[26:27], v[44:45]
	s_nop 0
	v_pk_add_f32 v[18:19], v[18:19], v[26:27]
	s_nop 0
	v_pk_mul_f32 v[10:11], v[18:19], v[10:11] op_sel_hi:[1,0]
	s_nop 0
	v_pk_fma_f32 v[26:27], v[18:19], v[8:9], v[10:11] op_sel:[0,0,1] op_sel_hi:[1,1,0]
	v_pk_fma_f32 v[8:9], v[18:19], v[8:9], v[10:11] op_sel:[0,0,1] op_sel_hi:[1,0,0] neg_lo:[0,0,1] neg_hi:[0,0,1]
	v_pk_fma_f32 v[10:11], v[90:91], s[0:1], v[12:13] neg_lo:[0,0,1] neg_hi:[0,0,1]
	v_mov_b32_e32 v27, v9
	v_mov_b32_e32 v21, v11
	v_pk_fma_f32 v[10:11], v[88:89], s[28:29], v[24:25] neg_lo:[0,0,1] neg_hi:[0,0,1]
	s_nop 0
	v_mov_b32_e32 v29, v11
	v_pk_fma_f32 v[10:11], v[82:83], s[10:11], v[38:39] neg_lo:[0,0,1] neg_hi:[0,0,1]
	s_nop 0
	;; [unrolled: 3-line block ×4, first 2 shown]
	v_mov_b32_e32 v63, v11
	v_pk_add_f32 v[2:3], v[62:63], v[2:3]
	s_nop 0
	v_pk_add_f32 v[2:3], v[54:55], v[2:3]
	s_nop 0
	;; [unrolled: 2-line block ×5, first 2 shown]
	v_pk_mul_f32 v[6:7], v[2:3], v[6:7] op_sel_hi:[1,0]
	s_nop 0
	v_pk_fma_f32 v[10:11], v[2:3], v[4:5], v[6:7] op_sel:[0,0,1] op_sel_hi:[1,1,0]
	v_pk_fma_f32 v[2:3], v[2:3], v[4:5], v[6:7] op_sel:[0,0,1] op_sel_hi:[1,0,0] neg_lo:[0,0,1] neg_hi:[0,0,1]
	s_nop 0
	v_mov_b32_e32 v11, v3
	global_store_dwordx2 v[36:37], v[10:11], off
	global_store_dwordx2 v[34:35], v[26:27], off
	global_store_dwordx2 v[32:33], v[42:43], off
	global_store_dwordx2 v[30:31], v[52:53], off
	global_store_dwordx2 v[14:15], v[58:59], off
	global_store_dwordx2 v[0:1], v[76:77], off
.LBB0_16:
	s_endpgm
	.section	.rodata,"a",@progbits
	.p2align	6, 0x0
	.amdhsa_kernel fft_rtc_back_len121_factors_11_11_wgs_121_tpt_11_sp_ip_CI_sbcc_twdbase8_2step_dirReg
		.amdhsa_group_segment_fixed_size 0
		.amdhsa_private_segment_fixed_size 0
		.amdhsa_kernarg_size 96
		.amdhsa_user_sgpr_count 2
		.amdhsa_user_sgpr_dispatch_ptr 0
		.amdhsa_user_sgpr_queue_ptr 0
		.amdhsa_user_sgpr_kernarg_segment_ptr 1
		.amdhsa_user_sgpr_dispatch_id 0
		.amdhsa_user_sgpr_kernarg_preload_length 0
		.amdhsa_user_sgpr_kernarg_preload_offset 0
		.amdhsa_user_sgpr_private_segment_size 0
		.amdhsa_uses_dynamic_stack 0
		.amdhsa_enable_private_segment 0
		.amdhsa_system_sgpr_workgroup_id_x 1
		.amdhsa_system_sgpr_workgroup_id_y 0
		.amdhsa_system_sgpr_workgroup_id_z 0
		.amdhsa_system_sgpr_workgroup_info 0
		.amdhsa_system_vgpr_workitem_id 0
		.amdhsa_next_free_vgpr 154
		.amdhsa_next_free_sgpr 54
		.amdhsa_accum_offset 156
		.amdhsa_reserve_vcc 1
		.amdhsa_float_round_mode_32 0
		.amdhsa_float_round_mode_16_64 0
		.amdhsa_float_denorm_mode_32 3
		.amdhsa_float_denorm_mode_16_64 3
		.amdhsa_dx10_clamp 1
		.amdhsa_ieee_mode 1
		.amdhsa_fp16_overflow 0
		.amdhsa_tg_split 0
		.amdhsa_exception_fp_ieee_invalid_op 0
		.amdhsa_exception_fp_denorm_src 0
		.amdhsa_exception_fp_ieee_div_zero 0
		.amdhsa_exception_fp_ieee_overflow 0
		.amdhsa_exception_fp_ieee_underflow 0
		.amdhsa_exception_fp_ieee_inexact 0
		.amdhsa_exception_int_div_zero 0
	.end_amdhsa_kernel
	.text
.Lfunc_end0:
	.size	fft_rtc_back_len121_factors_11_11_wgs_121_tpt_11_sp_ip_CI_sbcc_twdbase8_2step_dirReg, .Lfunc_end0-fft_rtc_back_len121_factors_11_11_wgs_121_tpt_11_sp_ip_CI_sbcc_twdbase8_2step_dirReg
                                        ; -- End function
	.section	.AMDGPU.csdata,"",@progbits
; Kernel info:
; codeLenInByte = 8244
; NumSgprs: 60
; NumVgprs: 154
; NumAgprs: 0
; TotalNumVgprs: 154
; ScratchSize: 0
; MemoryBound: 0
; FloatMode: 240
; IeeeMode: 1
; LDSByteSize: 0 bytes/workgroup (compile time only)
; SGPRBlocks: 7
; VGPRBlocks: 19
; NumSGPRsForWavesPerEU: 60
; NumVGPRsForWavesPerEU: 154
; AccumOffset: 156
; Occupancy: 3
; WaveLimiterHint : 1
; COMPUTE_PGM_RSRC2:SCRATCH_EN: 0
; COMPUTE_PGM_RSRC2:USER_SGPR: 2
; COMPUTE_PGM_RSRC2:TRAP_HANDLER: 0
; COMPUTE_PGM_RSRC2:TGID_X_EN: 1
; COMPUTE_PGM_RSRC2:TGID_Y_EN: 0
; COMPUTE_PGM_RSRC2:TGID_Z_EN: 0
; COMPUTE_PGM_RSRC2:TIDIG_COMP_CNT: 0
; COMPUTE_PGM_RSRC3_GFX90A:ACCUM_OFFSET: 38
; COMPUTE_PGM_RSRC3_GFX90A:TG_SPLIT: 0
	.text
	.p2alignl 6, 3212836864
	.fill 256, 4, 3212836864
	.type	__hip_cuid_39670862fa563a81,@object ; @__hip_cuid_39670862fa563a81
	.section	.bss,"aw",@nobits
	.globl	__hip_cuid_39670862fa563a81
__hip_cuid_39670862fa563a81:
	.byte	0                               ; 0x0
	.size	__hip_cuid_39670862fa563a81, 1

	.ident	"AMD clang version 19.0.0git (https://github.com/RadeonOpenCompute/llvm-project roc-6.4.0 25133 c7fe45cf4b819c5991fe208aaa96edf142730f1d)"
	.section	".note.GNU-stack","",@progbits
	.addrsig
	.addrsig_sym __hip_cuid_39670862fa563a81
	.amdgpu_metadata
---
amdhsa.kernels:
  - .agpr_count:     0
    .args:
      - .actual_access:  read_only
        .address_space:  global
        .offset:         0
        .size:           8
        .value_kind:     global_buffer
      - .address_space:  global
        .offset:         8
        .size:           8
        .value_kind:     global_buffer
      - .offset:         16
        .size:           8
        .value_kind:     by_value
      - .actual_access:  read_only
        .address_space:  global
        .offset:         24
        .size:           8
        .value_kind:     global_buffer
      - .actual_access:  read_only
        .address_space:  global
        .offset:         32
        .size:           8
        .value_kind:     global_buffer
      - .offset:         40
        .size:           8
        .value_kind:     by_value
      - .actual_access:  read_only
        .address_space:  global
        .offset:         48
        .size:           8
        .value_kind:     global_buffer
      - .actual_access:  read_only
        .address_space:  global
        .offset:         56
        .size:           8
        .value_kind:     global_buffer
      - .offset:         64
        .size:           4
        .value_kind:     by_value
      - .actual_access:  read_only
        .address_space:  global
        .offset:         72
        .size:           8
        .value_kind:     global_buffer
      - .actual_access:  read_only
        .address_space:  global
        .offset:         80
        .size:           8
        .value_kind:     global_buffer
      - .address_space:  global
        .offset:         88
        .size:           8
        .value_kind:     global_buffer
    .group_segment_fixed_size: 0
    .kernarg_segment_align: 8
    .kernarg_segment_size: 96
    .language:       OpenCL C
    .language_version:
      - 2
      - 0
    .max_flat_workgroup_size: 121
    .name:           fft_rtc_back_len121_factors_11_11_wgs_121_tpt_11_sp_ip_CI_sbcc_twdbase8_2step_dirReg
    .private_segment_fixed_size: 0
    .sgpr_count:     60
    .sgpr_spill_count: 0
    .symbol:         fft_rtc_back_len121_factors_11_11_wgs_121_tpt_11_sp_ip_CI_sbcc_twdbase8_2step_dirReg.kd
    .uniform_work_group_size: 1
    .uses_dynamic_stack: false
    .vgpr_count:     154
    .vgpr_spill_count: 0
    .wavefront_size: 64
amdhsa.target:   amdgcn-amd-amdhsa--gfx950
amdhsa.version:
  - 1
  - 2
...

	.end_amdgpu_metadata
